;; amdgpu-corpus repo=ROCm/rocFFT kind=compiled arch=gfx1030 opt=O3
	.text
	.amdgcn_target "amdgcn-amd-amdhsa--gfx1030"
	.amdhsa_code_object_version 6
	.protected	bluestein_single_fwd_len486_dim1_dp_op_CI_CI ; -- Begin function bluestein_single_fwd_len486_dim1_dp_op_CI_CI
	.globl	bluestein_single_fwd_len486_dim1_dp_op_CI_CI
	.p2align	8
	.type	bluestein_single_fwd_len486_dim1_dp_op_CI_CI,@function
bluestein_single_fwd_len486_dim1_dp_op_CI_CI: ; @bluestein_single_fwd_len486_dim1_dp_op_CI_CI
; %bb.0:
	s_load_dwordx4 s[0:3], s[4:5], 0x28
	v_mul_u32_u24_e32 v1, 0x195, v0
	v_mov_b32_e32 v57, 0
	v_lshrrev_b32_e32 v1, 16, v1
	v_add_nc_u32_e32 v56, s6, v1
	s_waitcnt lgkmcnt(0)
	v_cmp_gt_u64_e32 vcc_lo, s[0:1], v[56:57]
	s_and_saveexec_b32 s0, vcc_lo
	s_cbranch_execz .LBB0_15
; %bb.1:
	s_clause 0x1
	s_load_dwordx2 s[14:15], s[4:5], 0x0
	s_load_dwordx2 s[12:13], s[4:5], 0x38
	v_mul_lo_u16 v1, 0xa2, v1
	v_sub_nc_u16 v0, v0, v1
	v_and_b32_e32 v57, 0xffff, v0
	v_cmp_gt_u16_e32 vcc_lo, 0x51, v0
	v_lshlrev_b32_e32 v58, 4, v57
	s_and_saveexec_b32 s1, vcc_lo
	s_cbranch_execz .LBB0_3
; %bb.2:
	s_load_dwordx2 s[6:7], s[4:5], 0x18
	s_waitcnt lgkmcnt(0)
	v_add_co_u32 v15, s0, s14, v58
	v_add_co_ci_u32_e64 v18, null, s15, 0, s0
	global_load_dwordx4 v[0:3], v58, s[14:15]
	s_load_dwordx4 s[8:11], s[6:7], 0x0
	s_waitcnt lgkmcnt(0)
	v_mad_u64_u32 v[8:9], null, s10, v56, 0
	v_mad_u64_u32 v[10:11], null, s8, v57, 0
	s_mul_i32 s6, s9, 0x510
	s_mul_hi_u32 s7, s8, 0x510
	s_add_i32 s7, s7, s6
	v_mov_b32_e32 v4, v9
	v_mov_b32_e32 v5, v11
	v_mad_u64_u32 v[11:12], null, s11, v56, v[4:5]
	v_mad_u64_u32 v[12:13], null, s9, v57, v[5:6]
	global_load_dwordx4 v[4:7], v58, s[14:15] offset:1296
	v_add_co_u32 v13, s0, 0x800, v15
	v_add_co_ci_u32_e64 v14, s0, 0, v18, s0
	v_mov_b32_e32 v9, v11
	v_mov_b32_e32 v11, v12
	v_add_co_u32 v32, s0, 0x1000, v15
	v_add_co_ci_u32_e64 v33, s0, 0, v18, s0
	v_lshlrev_b64 v[8:9], 4, v[8:9]
	v_lshlrev_b64 v[10:11], 4, v[10:11]
	v_add_co_u32 v8, s0, s2, v8
	v_add_co_ci_u32_e64 v9, s0, s3, v9, s0
	s_mul_i32 s2, s8, 0x510
	v_add_co_u32 v16, s0, v8, v10
	v_add_co_ci_u32_e64 v17, s0, v9, v11, s0
	v_add_co_u32 v20, s0, v16, s2
	v_add_co_ci_u32_e64 v21, s0, s7, v17, s0
	v_add_co_u32 v40, s0, 0x1800, v15
	v_add_co_ci_u32_e64 v41, s0, 0, v18, s0
	v_add_co_u32 v24, s0, v20, s2
	v_add_co_ci_u32_e64 v25, s0, s7, v21, s0
	s_clause 0x1
	global_load_dwordx4 v[8:11], v[13:14], off offset:544
	global_load_dwordx4 v[12:15], v[13:14], off offset:1840
	v_add_co_u32 v28, s0, v24, s2
	v_add_co_ci_u32_e64 v29, s0, s7, v25, s0
	s_clause 0x1
	global_load_dwordx4 v[16:19], v[16:17], off
	global_load_dwordx4 v[20:23], v[20:21], off
	v_add_co_u32 v36, s0, v28, s2
	v_add_co_ci_u32_e64 v37, s0, s7, v29, s0
	global_load_dwordx4 v[24:27], v[24:25], off
	v_add_co_u32 v44, s0, v36, s2
	v_add_co_ci_u32_e64 v45, s0, s7, v37, s0
	global_load_dwordx4 v[28:31], v[28:29], off
	global_load_dwordx4 v[32:35], v[32:33], off offset:1088
	global_load_dwordx4 v[36:39], v[36:37], off
	global_load_dwordx4 v[40:43], v[40:41], off offset:336
	global_load_dwordx4 v[44:47], v[44:45], off
	s_waitcnt vmcnt(7)
	v_mul_f64 v[48:49], v[18:19], v[2:3]
	v_mul_f64 v[2:3], v[16:17], v[2:3]
	s_waitcnt vmcnt(6)
	v_mul_f64 v[50:51], v[22:23], v[6:7]
	v_mul_f64 v[6:7], v[20:21], v[6:7]
	;; [unrolled: 3-line block ×6, first 2 shown]
	v_fma_f64 v[14:15], v[16:17], v[0:1], v[48:49]
	v_fma_f64 v[16:17], v[18:19], v[0:1], -v[2:3]
	v_fma_f64 v[0:1], v[20:21], v[4:5], v[50:51]
	v_fma_f64 v[2:3], v[22:23], v[4:5], -v[6:7]
	;; [unrolled: 2-line block ×6, first 2 shown]
	ds_write_b128 v58, v[14:17]
	ds_write_b128 v58, v[0:3] offset:1296
	ds_write_b128 v58, v[4:7] offset:2592
	;; [unrolled: 1-line block ×5, first 2 shown]
.LBB0_3:
	s_or_b32 exec_lo, exec_lo, s1
	s_clause 0x1
	s_load_dwordx2 s[6:7], s[4:5], 0x20
	s_load_dwordx2 s[0:1], s[4:5], 0x8
	s_waitcnt lgkmcnt(0)
	s_barrier
	buffer_gl0_inv
                                        ; implicit-def: $vgpr0_vgpr1
                                        ; implicit-def: $vgpr4_vgpr5
                                        ; implicit-def: $vgpr8_vgpr9
                                        ; implicit-def: $vgpr12_vgpr13
                                        ; implicit-def: $vgpr16_vgpr17
                                        ; implicit-def: $vgpr20_vgpr21
	s_and_saveexec_b32 s2, vcc_lo
	s_cbranch_execz .LBB0_5
; %bb.4:
	ds_read_b128 v[0:3], v58
	ds_read_b128 v[4:7], v58 offset:1296
	ds_read_b128 v[8:11], v58 offset:2592
	;; [unrolled: 1-line block ×5, first 2 shown]
.LBB0_5:
	s_or_b32 exec_lo, exec_lo, s2
	s_waitcnt lgkmcnt(0)
	v_add_f64 v[24:25], v[14:15], v[22:23]
	v_add_f64 v[26:27], v[12:13], v[20:21]
	v_add_f64 v[28:29], v[14:15], -v[22:23]
	v_add_f64 v[30:31], v[12:13], -v[20:21]
	s_mov_b32 s2, 0xe8584caa
	s_mov_b32 s3, 0x3febb67a
	;; [unrolled: 1-line block ×4, first 2 shown]
	v_add_f64 v[32:33], v[8:9], v[16:17]
	v_add_f64 v[34:35], v[10:11], v[18:19]
	v_mul_lo_u16 v59, v57, 6
	s_barrier
	buffer_gl0_inv
	v_fma_f64 v[24:25], v[24:25], -0.5, v[6:7]
	v_fma_f64 v[26:27], v[26:27], -0.5, v[4:5]
	v_add_f64 v[4:5], v[4:5], v[12:13]
	v_add_f64 v[6:7], v[6:7], v[14:15]
	v_fma_f64 v[12:13], v[32:33], -0.5, v[0:1]
	v_fma_f64 v[14:15], v[34:35], -0.5, v[2:3]
	v_fma_f64 v[36:37], v[30:31], s[8:9], v[24:25]
	v_fma_f64 v[38:39], v[28:29], s[8:9], v[26:27]
	v_fma_f64 v[26:27], v[28:29], s[2:3], v[26:27]
	v_fma_f64 v[24:25], v[30:31], s[2:3], v[24:25]
	v_add_f64 v[28:29], v[0:1], v[8:9]
	v_add_f64 v[30:31], v[10:11], -v[18:19]
	v_add_f64 v[10:11], v[2:3], v[10:11]
	v_add_f64 v[8:9], v[8:9], -v[16:17]
	v_add_f64 v[2:3], v[4:5], v[20:21]
	v_add_f64 v[20:21], v[6:7], v[22:23]
	v_mul_f64 v[32:33], v[36:37], s[2:3]
	v_mul_f64 v[34:35], v[38:39], -0.5
	v_mul_f64 v[40:41], v[26:27], s[8:9]
	v_mul_f64 v[42:43], v[24:25], -0.5
	v_add_f64 v[0:1], v[28:29], v[16:17]
	v_fma_f64 v[4:5], v[30:31], s[2:3], v[12:13]
	v_add_f64 v[28:29], v[10:11], v[18:19]
	v_fma_f64 v[6:7], v[30:31], s[8:9], v[12:13]
	v_fma_f64 v[22:23], v[8:9], s[8:9], v[14:15]
	;; [unrolled: 1-line block ×3, first 2 shown]
	v_fma_f64 v[16:17], v[26:27], 0.5, v[32:33]
	v_fma_f64 v[18:19], v[24:25], s[2:3], v[34:35]
	v_fma_f64 v[32:33], v[36:37], 0.5, v[40:41]
	v_fma_f64 v[34:35], v[38:39], s[8:9], v[42:43]
	v_add_f64 v[8:9], v[0:1], -v[2:3]
	v_add_f64 v[10:11], v[28:29], -v[20:21]
	;; [unrolled: 1-line block ×6, first 2 shown]
	s_and_saveexec_b32 s4, vcc_lo
	s_cbranch_execz .LBB0_7
; %bb.6:
	v_add_f64 v[30:31], v[30:31], v[34:35]
	v_add_f64 v[22:23], v[22:23], v[32:33]
	;; [unrolled: 1-line block ×6, first 2 shown]
	v_mov_b32_e32 v0, 4
	v_lshlrev_b32_sdwa v0, v0, v59 dst_sel:DWORD dst_unused:UNUSED_PAD src0_sel:DWORD src1_sel:WORD_0
	ds_write_b128 v0, v[8:11] offset:48
	ds_write_b128 v0, v[12:15] offset:64
	ds_write_b128 v0, v[32:35]
	ds_write_b128 v0, v[20:23] offset:16
	ds_write_b128 v0, v[28:31] offset:32
	;; [unrolled: 1-line block ×3, first 2 shown]
.LBB0_7:
	s_or_b32 exec_lo, exec_lo, s4
	v_and_b32_e32 v50, 0xff, v57
	s_load_dwordx4 s[4:7], s[6:7], 0x0
	s_waitcnt lgkmcnt(0)
	s_barrier
	buffer_gl0_inv
	v_mul_lo_u16 v0, 0xab, v50
	v_lshlrev_b32_e32 v66, 5, v57
	v_lshrrev_b16 v42, 10, v0
	v_mul_lo_u16 v0, v42, 6
	v_sub_nc_u16 v0, v57, v0
	v_and_b32_e32 v43, 0xff, v0
	v_lshlrev_b32_e32 v0, 5, v43
	s_clause 0x1
	global_load_dwordx4 v[4:7], v0, s[0:1]
	global_load_dwordx4 v[0:3], v0, s[0:1] offset:16
	ds_read_b128 v[16:19], v58 offset:2592
	ds_read_b128 v[20:23], v58 offset:5184
	s_waitcnt vmcnt(1) lgkmcnt(1)
	v_mul_f64 v[28:29], v[18:19], v[6:7]
	s_waitcnt vmcnt(0) lgkmcnt(0)
	v_mul_f64 v[30:31], v[22:23], v[2:3]
	v_mul_f64 v[32:33], v[16:17], v[6:7]
	;; [unrolled: 1-line block ×3, first 2 shown]
	v_fma_f64 v[28:29], v[16:17], v[4:5], -v[28:29]
	v_fma_f64 v[20:21], v[20:21], v[0:1], -v[30:31]
	v_fma_f64 v[30:31], v[18:19], v[4:5], v[32:33]
	v_fma_f64 v[22:23], v[22:23], v[0:1], v[34:35]
	ds_read_b128 v[16:19], v58
	s_waitcnt lgkmcnt(0)
	s_barrier
	buffer_gl0_inv
	v_add_f64 v[32:33], v[28:29], v[20:21]
	v_add_f64 v[36:37], v[16:17], v[28:29]
	;; [unrolled: 1-line block ×3, first 2 shown]
	v_add_f64 v[38:39], v[30:31], -v[22:23]
	v_add_f64 v[30:31], v[18:19], v[30:31]
	v_add_f64 v[40:41], v[28:29], -v[20:21]
	v_fma_f64 v[32:33], v[32:33], -0.5, v[16:17]
	v_mul_lo_u16 v16, v50, 57
	v_fma_f64 v[34:35], v[34:35], -0.5, v[18:19]
	v_add_f64 v[18:19], v[30:31], v[22:23]
	v_lshrrev_b16 v51, 10, v16
	v_add_f64 v[16:17], v[36:37], v[20:21]
	v_fma_f64 v[20:21], v[38:39], s[2:3], v[32:33]
	v_fma_f64 v[28:29], v[38:39], s[8:9], v[32:33]
	;; [unrolled: 1-line block ×4, first 2 shown]
	v_mul_lo_u16 v32, v51, 18
	v_mov_b32_e32 v33, 18
	v_sub_nc_u16 v32, v57, v32
	v_mul_u32_u24_sdwa v33, v42, v33 dst_sel:DWORD dst_unused:UNUSED_PAD src0_sel:WORD_0 src1_sel:DWORD
	v_and_b32_e32 v52, 0xff, v32
	v_add_lshl_u32 v60, v33, v43, 4
	ds_write_b128 v60, v[16:19]
	ds_write_b128 v60, v[20:23] offset:96
	ds_write_b128 v60, v[28:31] offset:192
	v_lshlrev_b32_e32 v32, 5, v52
	s_waitcnt lgkmcnt(0)
	s_barrier
	buffer_gl0_inv
	s_clause 0x1
	global_load_dwordx4 v[20:23], v32, s[0:1] offset:192
	global_load_dwordx4 v[16:19], v32, s[0:1] offset:208
	ds_read_b128 v[28:31], v58 offset:2592
	ds_read_b128 v[32:35], v58 offset:5184
	s_waitcnt vmcnt(1) lgkmcnt(1)
	v_mul_f64 v[36:37], v[30:31], v[22:23]
	s_waitcnt vmcnt(0) lgkmcnt(0)
	v_mul_f64 v[38:39], v[34:35], v[18:19]
	v_mul_f64 v[40:41], v[28:29], v[22:23]
	;; [unrolled: 1-line block ×3, first 2 shown]
	v_fma_f64 v[36:37], v[28:29], v[20:21], -v[36:37]
	v_fma_f64 v[32:33], v[32:33], v[16:17], -v[38:39]
	v_fma_f64 v[38:39], v[30:31], v[20:21], v[40:41]
	v_fma_f64 v[34:35], v[34:35], v[16:17], v[42:43]
	ds_read_b128 v[28:31], v58
	s_waitcnt lgkmcnt(0)
	s_barrier
	buffer_gl0_inv
	v_add_f64 v[40:41], v[36:37], v[32:33]
	v_add_f64 v[44:45], v[28:29], v[36:37]
	;; [unrolled: 1-line block ×3, first 2 shown]
	v_add_f64 v[46:47], v[38:39], -v[34:35]
	v_add_f64 v[38:39], v[30:31], v[38:39]
	v_add_f64 v[48:49], v[36:37], -v[32:33]
	v_fma_f64 v[40:41], v[40:41], -0.5, v[28:29]
	v_mul_lo_u16 v28, v50, 19
	v_fma_f64 v[42:43], v[42:43], -0.5, v[30:31]
	v_add_f64 v[30:31], v[38:39], v[34:35]
	v_lshrrev_b16 v64, 10, v28
	v_add_f64 v[28:29], v[44:45], v[32:33]
	v_fma_f64 v[32:33], v[46:47], s[2:3], v[40:41]
	v_fma_f64 v[36:37], v[46:47], s[8:9], v[40:41]
	;; [unrolled: 1-line block ×4, first 2 shown]
	v_mul_lo_u16 v40, v64, 54
	v_mov_b32_e32 v41, 54
	v_sub_nc_u16 v40, v57, v40
	v_mul_u32_u24_sdwa v41, v51, v41 dst_sel:DWORD dst_unused:UNUSED_PAD src0_sel:WORD_0 src1_sel:DWORD
	v_and_b32_e32 v65, 0xff, v40
	v_add_lshl_u32 v61, v41, v52, 4
	ds_write_b128 v61, v[28:31]
	ds_write_b128 v61, v[32:35] offset:288
	ds_write_b128 v61, v[36:39] offset:576
	v_lshlrev_b32_e32 v40, 5, v65
	s_waitcnt lgkmcnt(0)
	s_barrier
	buffer_gl0_inv
	s_clause 0x1
	global_load_dwordx4 v[32:35], v40, s[0:1] offset:768
	global_load_dwordx4 v[28:31], v40, s[0:1] offset:784
	ds_read_b128 v[36:39], v58 offset:2592
	ds_read_b128 v[40:43], v58 offset:5184
	s_waitcnt vmcnt(1) lgkmcnt(1)
	v_mul_f64 v[44:45], v[38:39], v[34:35]
	s_waitcnt vmcnt(0) lgkmcnt(0)
	v_mul_f64 v[46:47], v[42:43], v[30:31]
	v_mul_f64 v[48:49], v[36:37], v[34:35]
	;; [unrolled: 1-line block ×3, first 2 shown]
	v_fma_f64 v[44:45], v[36:37], v[32:33], -v[44:45]
	v_fma_f64 v[40:41], v[40:41], v[28:29], -v[46:47]
	v_fma_f64 v[46:47], v[38:39], v[32:33], v[48:49]
	v_fma_f64 v[42:43], v[42:43], v[28:29], v[50:51]
	ds_read_b128 v[36:39], v58
	s_waitcnt lgkmcnt(0)
	s_barrier
	buffer_gl0_inv
	v_add_f64 v[48:49], v[44:45], v[40:41]
	v_add_f64 v[52:53], v[36:37], v[44:45]
	;; [unrolled: 1-line block ×3, first 2 shown]
	v_add_f64 v[54:55], v[46:47], -v[42:43]
	v_add_f64 v[46:47], v[38:39], v[46:47]
	v_add_f64 v[62:63], v[44:45], -v[40:41]
	v_fma_f64 v[48:49], v[48:49], -0.5, v[36:37]
	v_add_f64 v[36:37], v[52:53], v[40:41]
	v_fma_f64 v[50:51], v[50:51], -0.5, v[38:39]
	v_add_f64 v[38:39], v[46:47], v[42:43]
	v_fma_f64 v[40:41], v[54:55], s[2:3], v[48:49]
	v_fma_f64 v[44:45], v[54:55], s[8:9], v[48:49]
	;; [unrolled: 1-line block ×4, first 2 shown]
	v_mov_b32_e32 v48, 0xa2
	v_add_co_u32 v50, s0, s0, v66
	v_add_co_ci_u32_e64 v51, null, s1, 0, s0
	v_mul_u32_u24_sdwa v52, v64, v48 dst_sel:DWORD dst_unused:UNUSED_PAD src0_sel:WORD_0 src1_sel:DWORD
	v_add_co_u32 v48, s0, 0x9c0, v50
	v_add_co_ci_u32_e64 v49, s0, 0, v51, s0
	v_add_co_u32 v50, s0, 0x800, v50
	v_add_lshl_u32 v62, v52, v65, 4
	v_add_co_ci_u32_e64 v51, s0, 0, v51, s0
	ds_write_b128 v62, v[36:39]
	ds_write_b128 v62, v[40:43] offset:864
	ds_write_b128 v62, v[44:47] offset:1728
	s_waitcnt lgkmcnt(0)
	s_barrier
	buffer_gl0_inv
	s_clause 0x1
	global_load_dwordx4 v[36:39], v[50:51], off offset:448
	global_load_dwordx4 v[40:43], v[48:49], off offset:16
	ds_read_b128 v[44:47], v58 offset:2592
	ds_read_b128 v[48:51], v58 offset:5184
	s_waitcnt vmcnt(1) lgkmcnt(1)
	v_mul_f64 v[52:53], v[46:47], v[38:39]
	s_waitcnt vmcnt(0) lgkmcnt(0)
	v_mul_f64 v[54:55], v[50:51], v[42:43]
	v_mul_f64 v[63:64], v[44:45], v[38:39]
	;; [unrolled: 1-line block ×3, first 2 shown]
	v_fma_f64 v[52:53], v[44:45], v[36:37], -v[52:53]
	v_fma_f64 v[48:49], v[48:49], v[40:41], -v[54:55]
	v_fma_f64 v[54:55], v[46:47], v[36:37], v[63:64]
	v_fma_f64 v[50:51], v[50:51], v[40:41], v[65:66]
	ds_read_b128 v[44:47], v58
	v_add_f64 v[63:64], v[52:53], v[48:49]
	s_waitcnt lgkmcnt(0)
	v_add_f64 v[67:68], v[44:45], v[52:53]
	v_add_f64 v[65:66], v[54:55], v[50:51]
	v_add_f64 v[69:70], v[54:55], -v[50:51]
	v_add_f64 v[54:55], v[46:47], v[54:55]
	v_add_f64 v[71:72], v[52:53], -v[48:49]
	v_fma_f64 v[63:64], v[63:64], -0.5, v[44:45]
	v_add_f64 v[44:45], v[67:68], v[48:49]
	v_fma_f64 v[65:66], v[65:66], -0.5, v[46:47]
	v_add_f64 v[46:47], v[54:55], v[50:51]
	v_fma_f64 v[48:49], v[69:70], s[2:3], v[63:64]
	v_fma_f64 v[52:53], v[69:70], s[8:9], v[63:64]
	v_fma_f64 v[50:51], v[71:72], s[8:9], v[65:66]
	v_fma_f64 v[54:55], v[71:72], s[2:3], v[65:66]
	ds_write_b128 v58, v[44:47]
	ds_write_b128 v58, v[48:51] offset:2592
	ds_write_b128 v58, v[52:55] offset:5184
	s_waitcnt lgkmcnt(0)
	s_barrier
	buffer_gl0_inv
	s_and_saveexec_b32 s1, vcc_lo
	s_cbranch_execz .LBB0_9
; %bb.8:
	v_add_co_u32 v71, s0, s14, v58
	v_add_co_ci_u32_e64 v72, null, s15, 0, s0
	v_add_co_u32 v63, s0, 0x1800, v71
	v_add_co_ci_u32_e64 v64, s0, 0, v72, s0
	v_add_co_u32 v67, s0, 0x1e60, v71
	v_add_co_ci_u32_e64 v68, s0, 0, v72, s0
	;; [unrolled: 2-line block ×3, first 2 shown]
	v_add_co_u32 v83, s0, 0x3000, v71
	s_clause 0x1
	global_load_dwordx4 v[63:66], v[63:64], off offset:1632
	global_load_dwordx4 v[67:70], v[67:68], off offset:1296
	v_add_co_ci_u32_e64 v84, s0, 0, v72, s0
	s_clause 0x3
	global_load_dwordx4 v[71:74], v[75:76], off offset:128
	global_load_dwordx4 v[75:78], v[75:76], off offset:1424
	;; [unrolled: 1-line block ×4, first 2 shown]
	ds_read_b128 v[87:90], v58
	ds_read_b128 v[91:94], v58 offset:1296
	ds_read_b128 v[95:98], v58 offset:2592
	ds_read_b128 v[99:102], v58 offset:3888
	ds_read_b128 v[103:106], v58 offset:5184
	ds_read_b128 v[107:110], v58 offset:6480
	s_waitcnt vmcnt(5) lgkmcnt(5)
	v_mul_f64 v[111:112], v[89:90], v[65:66]
	v_mul_f64 v[65:66], v[87:88], v[65:66]
	s_waitcnt vmcnt(4) lgkmcnt(4)
	v_mul_f64 v[113:114], v[93:94], v[69:70]
	v_mul_f64 v[69:70], v[91:92], v[69:70]
	;; [unrolled: 3-line block ×6, first 2 shown]
	v_fma_f64 v[85:86], v[87:88], v[63:64], -v[111:112]
	v_fma_f64 v[87:88], v[89:90], v[63:64], v[65:66]
	v_fma_f64 v[63:64], v[91:92], v[67:68], -v[113:114]
	v_fma_f64 v[65:66], v[93:94], v[67:68], v[69:70]
	v_fma_f64 v[67:68], v[95:96], v[71:72], -v[115:116]
	v_fma_f64 v[69:70], v[97:98], v[71:72], v[73:74]
	v_fma_f64 v[71:72], v[99:100], v[75:76], -v[117:118]
	v_fma_f64 v[73:74], v[101:102], v[75:76], v[77:78]
	v_fma_f64 v[75:76], v[103:104], v[79:80], -v[119:120]
	v_fma_f64 v[77:78], v[105:106], v[79:80], v[81:82]
	v_fma_f64 v[79:80], v[107:108], v[83:84], -v[121:122]
	v_fma_f64 v[81:82], v[109:110], v[83:84], v[123:124]
	ds_write_b128 v58, v[85:88]
	ds_write_b128 v58, v[63:66] offset:1296
	ds_write_b128 v58, v[67:70] offset:2592
	;; [unrolled: 1-line block ×5, first 2 shown]
.LBB0_9:
	s_or_b32 exec_lo, exec_lo, s1
	s_waitcnt lgkmcnt(0)
	s_barrier
	buffer_gl0_inv
	s_and_saveexec_b32 s0, vcc_lo
	s_cbranch_execz .LBB0_11
; %bb.10:
	ds_read_b128 v[44:47], v58
	ds_read_b128 v[48:51], v58 offset:1296
	ds_read_b128 v[52:55], v58 offset:2592
	;; [unrolled: 1-line block ×5, first 2 shown]
.LBB0_11:
	s_or_b32 exec_lo, exec_lo, s0
	s_waitcnt lgkmcnt(0)
	s_barrier
	buffer_gl0_inv
	s_and_saveexec_b32 s0, vcc_lo
	s_cbranch_execz .LBB0_13
; %bb.12:
	v_add_f64 v[63:64], v[10:11], v[26:27]
	v_add_f64 v[65:66], v[8:9], v[24:25]
	v_add_f64 v[67:68], v[8:9], -v[24:25]
	s_mov_b32 s2, 0xe8584caa
	s_mov_b32 s3, 0xbfebb67a
	;; [unrolled: 1-line block ×4, first 2 shown]
	v_add_f64 v[69:70], v[54:55], v[14:15]
	v_add_f64 v[71:72], v[10:11], -v[26:27]
	v_add_f64 v[75:76], v[52:53], -v[12:13]
	v_add_f64 v[77:78], v[46:47], v[54:55]
	v_add_f64 v[10:11], v[50:51], v[10:11]
	;; [unrolled: 1-line block ×3, first 2 shown]
	v_fma_f64 v[63:64], v[63:64], -0.5, v[50:51]
	v_fma_f64 v[65:66], v[65:66], -0.5, v[48:49]
	v_add_f64 v[50:51], v[54:55], -v[14:15]
	v_fma_f64 v[46:47], v[69:70], -0.5, v[46:47]
	v_add_f64 v[14:15], v[77:78], v[14:15]
	v_add_f64 v[26:27], v[10:11], v[26:27]
	;; [unrolled: 1-line block ×3, first 2 shown]
	v_fma_f64 v[73:74], v[67:68], s[2:3], v[63:64]
	v_fma_f64 v[63:64], v[67:68], s[8:9], v[63:64]
	v_add_f64 v[67:68], v[52:53], v[12:13]
	v_add_f64 v[52:53], v[44:45], v[52:53]
	v_fma_f64 v[48:49], v[71:72], s[8:9], v[65:66]
	v_fma_f64 v[54:55], v[71:72], s[2:3], v[65:66]
	;; [unrolled: 1-line block ×3, first 2 shown]
	v_add_f64 v[10:11], v[14:15], -v[26:27]
	v_add_f64 v[14:15], v[14:15], v[26:27]
	v_mul_f64 v[65:66], v[73:74], -0.5
	v_mul_f64 v[69:70], v[63:64], 0.5
	v_fma_f64 v[44:45], v[67:68], -0.5, v[44:45]
	v_mul_f64 v[63:64], v[63:64], s[2:3]
	v_mul_f64 v[67:68], v[73:74], s[2:3]
	v_add_f64 v[12:13], v[52:53], v[12:13]
	v_fma_f64 v[52:53], v[75:76], s[2:3], v[46:47]
	v_fma_f64 v[65:66], v[48:49], s[8:9], v[65:66]
	;; [unrolled: 1-line block ×5, first 2 shown]
	v_fma_f64 v[63:64], v[54:55], 0.5, v[63:64]
	v_fma_f64 v[67:68], v[48:49], -0.5, v[67:68]
	v_add_f64 v[8:9], v[12:13], -v[24:25]
	v_add_f64 v[12:13], v[12:13], v[24:25]
	v_add_f64 v[26:27], v[52:53], -v[65:66]
	v_add_f64 v[50:51], v[52:53], v[65:66]
	v_add_f64 v[54:55], v[71:72], v[69:70]
	v_add_f64 v[46:47], v[71:72], -v[69:70]
	v_add_f64 v[52:53], v[44:45], v[63:64]
	v_add_f64 v[48:49], v[73:74], v[67:68]
	v_add_f64 v[44:45], v[44:45], -v[63:64]
	v_add_f64 v[24:25], v[73:74], -v[67:68]
	v_mov_b32_e32 v63, 4
	v_lshlrev_b32_sdwa v59, v63, v59 dst_sel:DWORD dst_unused:UNUSED_PAD src0_sel:DWORD src1_sel:WORD_0
	ds_write_b128 v59, v[12:15]
	ds_write_b128 v59, v[8:11] offset:48
	ds_write_b128 v59, v[52:55] offset:16
	;; [unrolled: 1-line block ×5, first 2 shown]
.LBB0_13:
	s_or_b32 exec_lo, exec_lo, s0
	s_waitcnt lgkmcnt(0)
	s_barrier
	buffer_gl0_inv
	ds_read_b128 v[8:11], v58 offset:2592
	ds_read_b128 v[12:15], v58 offset:5184
	s_mov_b32 s0, 0xe8584caa
	s_mov_b32 s1, 0xbfebb67a
	s_mov_b32 s3, 0x3febb67a
	s_mov_b32 s2, s0
	s_waitcnt lgkmcnt(1)
	v_mul_f64 v[24:25], v[6:7], v[10:11]
	s_waitcnt lgkmcnt(0)
	v_mul_f64 v[26:27], v[2:3], v[14:15]
	v_mul_f64 v[6:7], v[6:7], v[8:9]
	v_mul_f64 v[2:3], v[2:3], v[12:13]
	v_fma_f64 v[8:9], v[4:5], v[8:9], v[24:25]
	v_fma_f64 v[12:13], v[0:1], v[12:13], v[26:27]
	v_fma_f64 v[4:5], v[4:5], v[10:11], -v[6:7]
	v_fma_f64 v[6:7], v[0:1], v[14:15], -v[2:3]
	ds_read_b128 v[0:3], v58
	s_waitcnt lgkmcnt(0)
	s_barrier
	buffer_gl0_inv
	v_add_f64 v[10:11], v[8:9], v[12:13]
	v_add_f64 v[24:25], v[0:1], v[8:9]
	v_add_f64 v[14:15], v[4:5], v[6:7]
	v_add_f64 v[26:27], v[4:5], -v[6:7]
	v_add_f64 v[4:5], v[2:3], v[4:5]
	v_add_f64 v[44:45], v[8:9], -v[12:13]
	v_fma_f64 v[10:11], v[10:11], -0.5, v[0:1]
	v_add_f64 v[0:1], v[24:25], v[12:13]
	v_fma_f64 v[14:15], v[14:15], -0.5, v[2:3]
	v_add_f64 v[2:3], v[4:5], v[6:7]
	v_fma_f64 v[4:5], v[26:27], s[0:1], v[10:11]
	v_fma_f64 v[8:9], v[26:27], s[2:3], v[10:11]
	v_fma_f64 v[6:7], v[44:45], s[2:3], v[14:15]
	v_fma_f64 v[10:11], v[44:45], s[0:1], v[14:15]
	ds_write_b128 v60, v[0:3]
	ds_write_b128 v60, v[4:7] offset:96
	ds_write_b128 v60, v[8:11] offset:192
	s_waitcnt lgkmcnt(0)
	s_barrier
	buffer_gl0_inv
	ds_read_b128 v[0:3], v58 offset:2592
	ds_read_b128 v[4:7], v58 offset:5184
	s_waitcnt lgkmcnt(1)
	v_mul_f64 v[8:9], v[22:23], v[2:3]
	s_waitcnt lgkmcnt(0)
	v_mul_f64 v[10:11], v[18:19], v[6:7]
	v_mul_f64 v[12:13], v[22:23], v[0:1]
	v_mul_f64 v[14:15], v[18:19], v[4:5]
	v_fma_f64 v[8:9], v[20:21], v[0:1], v[8:9]
	v_fma_f64 v[4:5], v[16:17], v[4:5], v[10:11]
	v_fma_f64 v[10:11], v[20:21], v[2:3], -v[12:13]
	v_fma_f64 v[6:7], v[16:17], v[6:7], -v[14:15]
	ds_read_b128 v[0:3], v58
	s_waitcnt lgkmcnt(0)
	s_barrier
	buffer_gl0_inv
	v_add_f64 v[12:13], v[8:9], v[4:5]
	v_add_f64 v[16:17], v[0:1], v[8:9]
	v_add_f64 v[14:15], v[10:11], v[6:7]
	v_add_f64 v[18:19], v[10:11], -v[6:7]
	v_add_f64 v[10:11], v[2:3], v[10:11]
	v_add_f64 v[20:21], v[8:9], -v[4:5]
	v_fma_f64 v[12:13], v[12:13], -0.5, v[0:1]
	v_add_f64 v[0:1], v[16:17], v[4:5]
	v_fma_f64 v[14:15], v[14:15], -0.5, v[2:3]
	v_add_f64 v[2:3], v[10:11], v[6:7]
	v_fma_f64 v[4:5], v[18:19], s[0:1], v[12:13]
	v_fma_f64 v[8:9], v[18:19], s[2:3], v[12:13]
	v_fma_f64 v[6:7], v[20:21], s[2:3], v[14:15]
	v_fma_f64 v[10:11], v[20:21], s[0:1], v[14:15]
	ds_write_b128 v61, v[0:3]
	ds_write_b128 v61, v[4:7] offset:288
	ds_write_b128 v61, v[8:11] offset:576
	s_waitcnt lgkmcnt(0)
	s_barrier
	buffer_gl0_inv
	ds_read_b128 v[0:3], v58 offset:2592
	ds_read_b128 v[4:7], v58 offset:5184
	;; [unrolled: 36-line block ×3, first 2 shown]
	s_waitcnt lgkmcnt(1)
	v_mul_f64 v[8:9], v[38:39], v[2:3]
	s_waitcnt lgkmcnt(0)
	v_mul_f64 v[10:11], v[42:43], v[6:7]
	v_mul_f64 v[12:13], v[38:39], v[0:1]
	;; [unrolled: 1-line block ×3, first 2 shown]
	v_fma_f64 v[8:9], v[36:37], v[0:1], v[8:9]
	v_fma_f64 v[4:5], v[40:41], v[4:5], v[10:11]
	v_fma_f64 v[10:11], v[36:37], v[2:3], -v[12:13]
	v_fma_f64 v[6:7], v[40:41], v[6:7], -v[14:15]
	ds_read_b128 v[0:3], v58
	v_add_f64 v[12:13], v[8:9], v[4:5]
	s_waitcnt lgkmcnt(0)
	v_add_f64 v[16:17], v[0:1], v[8:9]
	v_add_f64 v[14:15], v[10:11], v[6:7]
	v_add_f64 v[18:19], v[10:11], -v[6:7]
	v_add_f64 v[10:11], v[2:3], v[10:11]
	v_add_f64 v[20:21], v[8:9], -v[4:5]
	v_fma_f64 v[12:13], v[12:13], -0.5, v[0:1]
	v_add_f64 v[0:1], v[16:17], v[4:5]
	v_fma_f64 v[14:15], v[14:15], -0.5, v[2:3]
	v_add_f64 v[2:3], v[10:11], v[6:7]
	v_fma_f64 v[4:5], v[18:19], s[0:1], v[12:13]
	v_fma_f64 v[8:9], v[18:19], s[2:3], v[12:13]
	;; [unrolled: 1-line block ×4, first 2 shown]
	ds_write_b128 v58, v[0:3]
	ds_write_b128 v58, v[4:7] offset:2592
	ds_write_b128 v58, v[8:11] offset:5184
	s_waitcnt lgkmcnt(0)
	s_barrier
	buffer_gl0_inv
	s_and_b32 exec_lo, exec_lo, vcc_lo
	s_cbranch_execz .LBB0_15
; %bb.14:
	v_add_co_u32 v14, s0, s14, v58
	v_add_co_ci_u32_e64 v15, null, s15, 0, s0
	v_mad_u64_u32 v[48:49], null, s6, v56, 0
	v_add_co_u32 v12, vcc_lo, 0x800, v14
	v_add_co_ci_u32_e32 v13, vcc_lo, 0, v15, vcc_lo
	v_add_co_u32 v16, vcc_lo, 0x1000, v14
	v_add_co_ci_u32_e32 v17, vcc_lo, 0, v15, vcc_lo
	v_add_co_u32 v20, vcc_lo, 0x1800, v14
	s_clause 0x2
	global_load_dwordx4 v[0:3], v58, s[14:15]
	global_load_dwordx4 v[4:7], v58, s[14:15] offset:1296
	global_load_dwordx4 v[8:11], v[12:13], off offset:544
	v_add_co_ci_u32_e32 v21, vcc_lo, 0, v15, vcc_lo
	s_clause 0x2
	global_load_dwordx4 v[12:15], v[12:13], off offset:1840
	global_load_dwordx4 v[16:19], v[16:17], off offset:1088
	;; [unrolled: 1-line block ×3, first 2 shown]
	v_mad_u64_u32 v[50:51], null, s4, v57, 0
	ds_read_b128 v[24:27], v58
	ds_read_b128 v[28:31], v58 offset:1296
	ds_read_b128 v[32:35], v58 offset:2592
	;; [unrolled: 1-line block ×5, first 2 shown]
	s_mov_b32 s0, 0xa88f4696
	s_mov_b32 s1, 0x3f60db20
	s_mul_i32 s2, s5, 0x510
	s_mul_hi_u32 s3, s4, 0x510
	s_mulk_i32 s4, 0x510
	v_mad_u64_u32 v[52:53], null, s7, v56, v[49:50]
	s_add_i32 s3, s3, s2
	v_mad_u64_u32 v[53:54], null, s5, v57, v[51:52]
	v_mov_b32_e32 v49, v52
	v_lshlrev_b64 v[48:49], 4, v[48:49]
	v_mov_b32_e32 v51, v53
	v_lshlrev_b64 v[50:51], 4, v[50:51]
	v_add_co_u32 v48, vcc_lo, s12, v48
	v_add_co_ci_u32_e32 v49, vcc_lo, s13, v49, vcc_lo
	s_waitcnt vmcnt(5) lgkmcnt(5)
	v_mul_f64 v[52:53], v[26:27], v[2:3]
	v_mul_f64 v[2:3], v[24:25], v[2:3]
	s_waitcnt vmcnt(4) lgkmcnt(4)
	v_mul_f64 v[54:55], v[30:31], v[6:7]
	v_mul_f64 v[6:7], v[28:29], v[6:7]
	;; [unrolled: 3-line block ×6, first 2 shown]
	v_fma_f64 v[24:25], v[24:25], v[0:1], v[52:53]
	v_fma_f64 v[2:3], v[0:1], v[26:27], -v[2:3]
	v_fma_f64 v[26:27], v[28:29], v[4:5], v[54:55]
	v_fma_f64 v[6:7], v[4:5], v[30:31], -v[6:7]
	;; [unrolled: 2-line block ×6, first 2 shown]
	v_add_co_u32 v36, vcc_lo, v48, v50
	v_add_co_ci_u32_e32 v37, vcc_lo, v49, v51, vcc_lo
	v_add_co_u32 v38, vcc_lo, v36, s4
	v_add_co_ci_u32_e32 v39, vcc_lo, s3, v37, vcc_lo
	v_mul_f64 v[0:1], v[24:25], s[0:1]
	v_mul_f64 v[2:3], v[2:3], s[0:1]
	;; [unrolled: 1-line block ×12, first 2 shown]
	v_add_co_u32 v24, vcc_lo, v38, s4
	v_add_co_ci_u32_e32 v25, vcc_lo, s3, v39, vcc_lo
	v_add_co_u32 v26, vcc_lo, v24, s4
	v_add_co_ci_u32_e32 v27, vcc_lo, s3, v25, vcc_lo
	;; [unrolled: 2-line block ×4, first 2 shown]
	global_store_dwordx4 v[36:37], v[0:3], off
	global_store_dwordx4 v[38:39], v[4:7], off
	;; [unrolled: 1-line block ×6, first 2 shown]
.LBB0_15:
	s_endpgm
	.section	.rodata,"a",@progbits
	.p2align	6, 0x0
	.amdhsa_kernel bluestein_single_fwd_len486_dim1_dp_op_CI_CI
		.amdhsa_group_segment_fixed_size 7776
		.amdhsa_private_segment_fixed_size 0
		.amdhsa_kernarg_size 104
		.amdhsa_user_sgpr_count 6
		.amdhsa_user_sgpr_private_segment_buffer 1
		.amdhsa_user_sgpr_dispatch_ptr 0
		.amdhsa_user_sgpr_queue_ptr 0
		.amdhsa_user_sgpr_kernarg_segment_ptr 1
		.amdhsa_user_sgpr_dispatch_id 0
		.amdhsa_user_sgpr_flat_scratch_init 0
		.amdhsa_user_sgpr_private_segment_size 0
		.amdhsa_wavefront_size32 1
		.amdhsa_uses_dynamic_stack 0
		.amdhsa_system_sgpr_private_segment_wavefront_offset 0
		.amdhsa_system_sgpr_workgroup_id_x 1
		.amdhsa_system_sgpr_workgroup_id_y 0
		.amdhsa_system_sgpr_workgroup_id_z 0
		.amdhsa_system_sgpr_workgroup_info 0
		.amdhsa_system_vgpr_workitem_id 0
		.amdhsa_next_free_vgpr 125
		.amdhsa_next_free_sgpr 16
		.amdhsa_reserve_vcc 1
		.amdhsa_reserve_flat_scratch 0
		.amdhsa_float_round_mode_32 0
		.amdhsa_float_round_mode_16_64 0
		.amdhsa_float_denorm_mode_32 3
		.amdhsa_float_denorm_mode_16_64 3
		.amdhsa_dx10_clamp 1
		.amdhsa_ieee_mode 1
		.amdhsa_fp16_overflow 0
		.amdhsa_workgroup_processor_mode 1
		.amdhsa_memory_ordered 1
		.amdhsa_forward_progress 0
		.amdhsa_shared_vgpr_count 0
		.amdhsa_exception_fp_ieee_invalid_op 0
		.amdhsa_exception_fp_denorm_src 0
		.amdhsa_exception_fp_ieee_div_zero 0
		.amdhsa_exception_fp_ieee_overflow 0
		.amdhsa_exception_fp_ieee_underflow 0
		.amdhsa_exception_fp_ieee_inexact 0
		.amdhsa_exception_int_div_zero 0
	.end_amdhsa_kernel
	.text
.Lfunc_end0:
	.size	bluestein_single_fwd_len486_dim1_dp_op_CI_CI, .Lfunc_end0-bluestein_single_fwd_len486_dim1_dp_op_CI_CI
                                        ; -- End function
	.section	.AMDGPU.csdata,"",@progbits
; Kernel info:
; codeLenInByte = 5668
; NumSgprs: 18
; NumVgprs: 125
; ScratchSize: 0
; MemoryBound: 0
; FloatMode: 240
; IeeeMode: 1
; LDSByteSize: 7776 bytes/workgroup (compile time only)
; SGPRBlocks: 2
; VGPRBlocks: 15
; NumSGPRsForWavesPerEU: 18
; NumVGPRsForWavesPerEU: 125
; Occupancy: 8
; WaveLimiterHint : 1
; COMPUTE_PGM_RSRC2:SCRATCH_EN: 0
; COMPUTE_PGM_RSRC2:USER_SGPR: 6
; COMPUTE_PGM_RSRC2:TRAP_HANDLER: 0
; COMPUTE_PGM_RSRC2:TGID_X_EN: 1
; COMPUTE_PGM_RSRC2:TGID_Y_EN: 0
; COMPUTE_PGM_RSRC2:TGID_Z_EN: 0
; COMPUTE_PGM_RSRC2:TIDIG_COMP_CNT: 0
	.text
	.p2alignl 6, 3214868480
	.fill 48, 4, 3214868480
	.type	__hip_cuid_b09dc51c0a19b1c,@object ; @__hip_cuid_b09dc51c0a19b1c
	.section	.bss,"aw",@nobits
	.globl	__hip_cuid_b09dc51c0a19b1c
__hip_cuid_b09dc51c0a19b1c:
	.byte	0                               ; 0x0
	.size	__hip_cuid_b09dc51c0a19b1c, 1

	.ident	"AMD clang version 19.0.0git (https://github.com/RadeonOpenCompute/llvm-project roc-6.4.0 25133 c7fe45cf4b819c5991fe208aaa96edf142730f1d)"
	.section	".note.GNU-stack","",@progbits
	.addrsig
	.addrsig_sym __hip_cuid_b09dc51c0a19b1c
	.amdgpu_metadata
---
amdhsa.kernels:
  - .args:
      - .actual_access:  read_only
        .address_space:  global
        .offset:         0
        .size:           8
        .value_kind:     global_buffer
      - .actual_access:  read_only
        .address_space:  global
        .offset:         8
        .size:           8
        .value_kind:     global_buffer
      - .actual_access:  read_only
        .address_space:  global
        .offset:         16
        .size:           8
        .value_kind:     global_buffer
      - .actual_access:  read_only
        .address_space:  global
        .offset:         24
        .size:           8
        .value_kind:     global_buffer
      - .actual_access:  read_only
        .address_space:  global
        .offset:         32
        .size:           8
        .value_kind:     global_buffer
      - .offset:         40
        .size:           8
        .value_kind:     by_value
      - .address_space:  global
        .offset:         48
        .size:           8
        .value_kind:     global_buffer
      - .address_space:  global
        .offset:         56
        .size:           8
        .value_kind:     global_buffer
      - .address_space:  global
        .offset:         64
        .size:           8
        .value_kind:     global_buffer
      - .address_space:  global
        .offset:         72
        .size:           8
        .value_kind:     global_buffer
      - .offset:         80
        .size:           4
        .value_kind:     by_value
      - .address_space:  global
        .offset:         88
        .size:           8
        .value_kind:     global_buffer
      - .address_space:  global
        .offset:         96
        .size:           8
        .value_kind:     global_buffer
    .group_segment_fixed_size: 7776
    .kernarg_segment_align: 8
    .kernarg_segment_size: 104
    .language:       OpenCL C
    .language_version:
      - 2
      - 0
    .max_flat_workgroup_size: 162
    .name:           bluestein_single_fwd_len486_dim1_dp_op_CI_CI
    .private_segment_fixed_size: 0
    .sgpr_count:     18
    .sgpr_spill_count: 0
    .symbol:         bluestein_single_fwd_len486_dim1_dp_op_CI_CI.kd
    .uniform_work_group_size: 1
    .uses_dynamic_stack: false
    .vgpr_count:     125
    .vgpr_spill_count: 0
    .wavefront_size: 32
    .workgroup_processor_mode: 1
amdhsa.target:   amdgcn-amd-amdhsa--gfx1030
amdhsa.version:
  - 1
  - 2
...

	.end_amdgpu_metadata
